;; amdgpu-corpus repo=ROCm/rocFFT kind=compiled arch=gfx906 opt=O3
	.text
	.amdgcn_target "amdgcn-amd-amdhsa--gfx906"
	.amdhsa_code_object_version 6
	.protected	fft_rtc_fwd_len594_factors_11_3_6_3_wgs_99_tpt_99_half_op_CI_CI_unitstride_sbrr_dirReg ; -- Begin function fft_rtc_fwd_len594_factors_11_3_6_3_wgs_99_tpt_99_half_op_CI_CI_unitstride_sbrr_dirReg
	.globl	fft_rtc_fwd_len594_factors_11_3_6_3_wgs_99_tpt_99_half_op_CI_CI_unitstride_sbrr_dirReg
	.p2align	8
	.type	fft_rtc_fwd_len594_factors_11_3_6_3_wgs_99_tpt_99_half_op_CI_CI_unitstride_sbrr_dirReg,@function
fft_rtc_fwd_len594_factors_11_3_6_3_wgs_99_tpt_99_half_op_CI_CI_unitstride_sbrr_dirReg: ; @fft_rtc_fwd_len594_factors_11_3_6_3_wgs_99_tpt_99_half_op_CI_CI_unitstride_sbrr_dirReg
; %bb.0:
	s_load_dwordx4 s[8:11], s[4:5], 0x58
	s_load_dwordx4 s[12:15], s[4:5], 0x0
	;; [unrolled: 1-line block ×3, first 2 shown]
	v_mul_u32_u24_e32 v1, 0x296, v0
	v_mov_b32_e32 v5, 0
	v_mov_b32_e32 v7, 0
	s_waitcnt lgkmcnt(0)
	v_cmp_lt_u64_e64 s[0:1], s[14:15], 2
	v_add_u32_sdwa v9, s6, v1 dst_sel:DWORD dst_unused:UNUSED_PAD src0_sel:DWORD src1_sel:WORD_1
	v_mov_b32_e32 v10, v5
	s_and_b64 vcc, exec, s[0:1]
	v_mov_b32_e32 v8, 0
	s_cbranch_vccnz .LBB0_8
; %bb.1:
	s_load_dwordx2 s[0:1], s[4:5], 0x10
	s_add_u32 s2, s18, 8
	s_addc_u32 s3, s19, 0
	s_add_u32 s6, s16, 8
	s_addc_u32 s7, s17, 0
	v_mov_b32_e32 v7, 0
	s_waitcnt lgkmcnt(0)
	s_add_u32 s20, s0, 8
	v_mov_b32_e32 v8, 0
	v_mov_b32_e32 v1, v7
	s_addc_u32 s21, s1, 0
	s_mov_b64 s[22:23], 1
	v_mov_b32_e32 v2, v8
.LBB0_2:                                ; =>This Inner Loop Header: Depth=1
	s_load_dwordx2 s[24:25], s[20:21], 0x0
                                        ; implicit-def: $vgpr3_vgpr4
	s_waitcnt lgkmcnt(0)
	v_or_b32_e32 v6, s25, v10
	v_cmp_ne_u64_e32 vcc, 0, v[5:6]
	s_and_saveexec_b64 s[0:1], vcc
	s_xor_b64 s[26:27], exec, s[0:1]
	s_cbranch_execz .LBB0_4
; %bb.3:                                ;   in Loop: Header=BB0_2 Depth=1
	v_cvt_f32_u32_e32 v3, s24
	v_cvt_f32_u32_e32 v4, s25
	s_sub_u32 s0, 0, s24
	s_subb_u32 s1, 0, s25
	v_mac_f32_e32 v3, 0x4f800000, v4
	v_rcp_f32_e32 v3, v3
	v_mul_f32_e32 v3, 0x5f7ffffc, v3
	v_mul_f32_e32 v4, 0x2f800000, v3
	v_trunc_f32_e32 v4, v4
	v_mac_f32_e32 v3, 0xcf800000, v4
	v_cvt_u32_f32_e32 v4, v4
	v_cvt_u32_f32_e32 v3, v3
	v_mul_lo_u32 v6, s0, v4
	v_mul_hi_u32 v11, s0, v3
	v_mul_lo_u32 v13, s1, v3
	v_mul_lo_u32 v12, s0, v3
	v_add_u32_e32 v6, v11, v6
	v_add_u32_e32 v6, v6, v13
	v_mul_hi_u32 v11, v3, v12
	v_mul_lo_u32 v13, v3, v6
	v_mul_hi_u32 v15, v3, v6
	v_mul_hi_u32 v14, v4, v12
	v_mul_lo_u32 v12, v4, v12
	v_mul_hi_u32 v16, v4, v6
	v_add_co_u32_e32 v11, vcc, v11, v13
	v_addc_co_u32_e32 v13, vcc, 0, v15, vcc
	v_mul_lo_u32 v6, v4, v6
	v_add_co_u32_e32 v11, vcc, v11, v12
	v_addc_co_u32_e32 v11, vcc, v13, v14, vcc
	v_addc_co_u32_e32 v12, vcc, 0, v16, vcc
	v_add_co_u32_e32 v6, vcc, v11, v6
	v_addc_co_u32_e32 v11, vcc, 0, v12, vcc
	v_add_co_u32_e32 v3, vcc, v3, v6
	v_addc_co_u32_e32 v4, vcc, v4, v11, vcc
	v_mul_lo_u32 v6, s0, v4
	v_mul_hi_u32 v11, s0, v3
	v_mul_lo_u32 v12, s1, v3
	v_mul_lo_u32 v13, s0, v3
	v_add_u32_e32 v6, v11, v6
	v_add_u32_e32 v6, v6, v12
	v_mul_lo_u32 v14, v3, v6
	v_mul_hi_u32 v15, v3, v13
	v_mul_hi_u32 v16, v3, v6
	v_mul_hi_u32 v12, v4, v13
	v_mul_lo_u32 v13, v4, v13
	v_mul_hi_u32 v11, v4, v6
	v_add_co_u32_e32 v14, vcc, v15, v14
	v_addc_co_u32_e32 v15, vcc, 0, v16, vcc
	v_mul_lo_u32 v6, v4, v6
	v_add_co_u32_e32 v13, vcc, v14, v13
	v_addc_co_u32_e32 v12, vcc, v15, v12, vcc
	v_addc_co_u32_e32 v11, vcc, 0, v11, vcc
	v_add_co_u32_e32 v6, vcc, v12, v6
	v_addc_co_u32_e32 v11, vcc, 0, v11, vcc
	v_add_co_u32_e32 v6, vcc, v3, v6
	v_addc_co_u32_e32 v11, vcc, v4, v11, vcc
	v_mad_u64_u32 v[3:4], s[0:1], v9, v11, 0
	v_mul_hi_u32 v12, v9, v6
	v_add_co_u32_e32 v13, vcc, v12, v3
	v_addc_co_u32_e32 v14, vcc, 0, v4, vcc
	v_mad_u64_u32 v[3:4], s[0:1], v10, v6, 0
	v_mad_u64_u32 v[11:12], s[0:1], v10, v11, 0
	v_add_co_u32_e32 v3, vcc, v13, v3
	v_addc_co_u32_e32 v3, vcc, v14, v4, vcc
	v_addc_co_u32_e32 v4, vcc, 0, v12, vcc
	v_add_co_u32_e32 v6, vcc, v3, v11
	v_addc_co_u32_e32 v11, vcc, 0, v4, vcc
	v_mul_lo_u32 v12, s25, v6
	v_mul_lo_u32 v13, s24, v11
	v_mad_u64_u32 v[3:4], s[0:1], s24, v6, 0
	v_add3_u32 v4, v4, v13, v12
	v_sub_u32_e32 v12, v10, v4
	v_mov_b32_e32 v13, s25
	v_sub_co_u32_e32 v3, vcc, v9, v3
	v_subb_co_u32_e64 v12, s[0:1], v12, v13, vcc
	v_subrev_co_u32_e64 v13, s[0:1], s24, v3
	v_subbrev_co_u32_e64 v12, s[0:1], 0, v12, s[0:1]
	v_cmp_le_u32_e64 s[0:1], s25, v12
	v_cndmask_b32_e64 v14, 0, -1, s[0:1]
	v_cmp_le_u32_e64 s[0:1], s24, v13
	v_cndmask_b32_e64 v13, 0, -1, s[0:1]
	v_cmp_eq_u32_e64 s[0:1], s25, v12
	v_cndmask_b32_e64 v12, v14, v13, s[0:1]
	v_add_co_u32_e64 v13, s[0:1], 2, v6
	v_addc_co_u32_e64 v14, s[0:1], 0, v11, s[0:1]
	v_add_co_u32_e64 v15, s[0:1], 1, v6
	v_addc_co_u32_e64 v16, s[0:1], 0, v11, s[0:1]
	v_subb_co_u32_e32 v4, vcc, v10, v4, vcc
	v_cmp_ne_u32_e64 s[0:1], 0, v12
	v_cmp_le_u32_e32 vcc, s25, v4
	v_cndmask_b32_e64 v12, v16, v14, s[0:1]
	v_cndmask_b32_e64 v14, 0, -1, vcc
	v_cmp_le_u32_e32 vcc, s24, v3
	v_cndmask_b32_e64 v3, 0, -1, vcc
	v_cmp_eq_u32_e32 vcc, s25, v4
	v_cndmask_b32_e32 v3, v14, v3, vcc
	v_cmp_ne_u32_e32 vcc, 0, v3
	v_cndmask_b32_e64 v3, v15, v13, s[0:1]
	v_cndmask_b32_e32 v4, v11, v12, vcc
	v_cndmask_b32_e32 v3, v6, v3, vcc
.LBB0_4:                                ;   in Loop: Header=BB0_2 Depth=1
	s_andn2_saveexec_b64 s[0:1], s[26:27]
	s_cbranch_execz .LBB0_6
; %bb.5:                                ;   in Loop: Header=BB0_2 Depth=1
	v_cvt_f32_u32_e32 v3, s24
	s_sub_i32 s26, 0, s24
	v_rcp_iflag_f32_e32 v3, v3
	v_mul_f32_e32 v3, 0x4f7ffffe, v3
	v_cvt_u32_f32_e32 v3, v3
	v_mul_lo_u32 v4, s26, v3
	v_mul_hi_u32 v4, v3, v4
	v_add_u32_e32 v3, v3, v4
	v_mul_hi_u32 v3, v9, v3
	v_mul_lo_u32 v4, v3, s24
	v_add_u32_e32 v6, 1, v3
	v_sub_u32_e32 v4, v9, v4
	v_subrev_u32_e32 v11, s24, v4
	v_cmp_le_u32_e32 vcc, s24, v4
	v_cndmask_b32_e32 v4, v4, v11, vcc
	v_cndmask_b32_e32 v3, v3, v6, vcc
	v_add_u32_e32 v6, 1, v3
	v_cmp_le_u32_e32 vcc, s24, v4
	v_cndmask_b32_e32 v3, v3, v6, vcc
	v_mov_b32_e32 v4, v5
.LBB0_6:                                ;   in Loop: Header=BB0_2 Depth=1
	s_or_b64 exec, exec, s[0:1]
	v_mul_lo_u32 v6, v4, s24
	v_mul_lo_u32 v13, v3, s25
	v_mad_u64_u32 v[11:12], s[0:1], v3, s24, 0
	s_load_dwordx2 s[0:1], s[6:7], 0x0
	s_load_dwordx2 s[24:25], s[2:3], 0x0
	v_add3_u32 v6, v12, v13, v6
	v_sub_co_u32_e32 v9, vcc, v9, v11
	v_subb_co_u32_e32 v6, vcc, v10, v6, vcc
	s_waitcnt lgkmcnt(0)
	v_mul_lo_u32 v10, s0, v6
	v_mul_lo_u32 v11, s1, v9
	v_mad_u64_u32 v[7:8], s[0:1], s0, v9, v[7:8]
	s_add_u32 s22, s22, 1
	s_addc_u32 s23, s23, 0
	s_add_u32 s2, s2, 8
	v_mul_lo_u32 v6, s24, v6
	v_mul_lo_u32 v12, s25, v9
	v_mad_u64_u32 v[1:2], s[0:1], s24, v9, v[1:2]
	v_add3_u32 v8, v11, v8, v10
	s_addc_u32 s3, s3, 0
	v_mov_b32_e32 v9, s14
	s_add_u32 s6, s6, 8
	v_mov_b32_e32 v10, s15
	s_addc_u32 s7, s7, 0
	v_cmp_ge_u64_e32 vcc, s[22:23], v[9:10]
	s_add_u32 s20, s20, 8
	v_add3_u32 v2, v12, v2, v6
	s_addc_u32 s21, s21, 0
	s_cbranch_vccnz .LBB0_9
; %bb.7:                                ;   in Loop: Header=BB0_2 Depth=1
	v_mov_b32_e32 v10, v4
	v_mov_b32_e32 v9, v3
	s_branch .LBB0_2
.LBB0_8:
	v_mov_b32_e32 v1, v7
	v_mov_b32_e32 v3, v9
	;; [unrolled: 1-line block ×4, first 2 shown]
.LBB0_9:
	s_load_dwordx2 s[0:1], s[4:5], 0x28
	s_mov_b32 s4, 0x295fad5
	v_mul_hi_u32 v5, v0, s4
	s_lshl_b64 s[2:3], s[14:15], 3
	s_add_u32 s4, s18, s2
	s_waitcnt lgkmcnt(0)
	v_cmp_gt_u64_e32 vcc, s[0:1], v[3:4]
	v_mul_u32_u24_e32 v5, 0x63, v5
	v_sub_u32_e32 v5, v0, v5
	v_cmp_gt_u32_e64 s[0:1], 54, v5
	s_addc_u32 s5, s19, s3
	s_and_b64 s[14:15], vcc, s[0:1]
	v_mov_b32_e32 v18, 0
	v_mov_b32_e32 v0, 0
                                        ; implicit-def: $vgpr19
                                        ; implicit-def: $vgpr6
                                        ; implicit-def: $vgpr20
                                        ; implicit-def: $vgpr9
                                        ; implicit-def: $vgpr21
                                        ; implicit-def: $vgpr10
                                        ; implicit-def: $vgpr22
                                        ; implicit-def: $vgpr11
                                        ; implicit-def: $vgpr23
                                        ; implicit-def: $vgpr12
                                        ; implicit-def: $vgpr24
                                        ; implicit-def: $vgpr17
                                        ; implicit-def: $vgpr25
                                        ; implicit-def: $vgpr16
                                        ; implicit-def: $vgpr26
                                        ; implicit-def: $vgpr15
                                        ; implicit-def: $vgpr27
                                        ; implicit-def: $vgpr14
                                        ; implicit-def: $vgpr28
                                        ; implicit-def: $vgpr13
	s_and_saveexec_b64 s[6:7], s[14:15]
	s_cbranch_execz .LBB0_11
; %bb.10:
	s_add_u32 s2, s16, s2
	s_addc_u32 s3, s17, s3
	s_load_dwordx2 s[2:3], s[2:3], 0x0
	v_mov_b32_e32 v12, s9
	v_lshlrev_b64 v[7:8], 2, v[7:8]
	v_mov_b32_e32 v6, 0
	s_waitcnt lgkmcnt(0)
	v_mul_lo_u32 v0, s3, v3
	v_mul_lo_u32 v11, s2, v4
	v_mad_u64_u32 v[9:10], s[2:3], s2, v3, 0
	v_add3_u32 v10, v10, v11, v0
	v_lshlrev_b64 v[9:10], 2, v[9:10]
	v_add_co_u32_e64 v0, s[2:3], s8, v9
	v_addc_co_u32_e64 v9, s[2:3], v12, v10, s[2:3]
	v_add_co_u32_e64 v0, s[2:3], v0, v7
	v_lshlrev_b64 v[6:7], 2, v[5:6]
	v_addc_co_u32_e64 v8, s[2:3], v9, v8, s[2:3]
	v_add_co_u32_e64 v18, s[2:3], v0, v6
	v_addc_co_u32_e64 v19, s[2:3], v8, v7, s[2:3]
	global_load_dword v0, v[18:19], off
	global_load_dword v6, v[18:19], off offset:216
	global_load_dword v9, v[18:19], off offset:432
	;; [unrolled: 1-line block ×10, first 2 shown]
	s_waitcnt vmcnt(10)
	v_lshrrev_b32_e32 v18, 16, v0
	s_waitcnt vmcnt(9)
	v_lshrrev_b32_e32 v19, 16, v6
	;; [unrolled: 2-line block ×11, first 2 shown]
.LBB0_11:
	s_or_b64 exec, exec, s[6:7]
	s_and_saveexec_b64 s[2:3], s[0:1]
	s_cbranch_execz .LBB0_13
; %bb.12:
	v_sub_f16_e32 v7, v6, v17
	v_mul_f16_e32 v8, 0xb482, v7
	v_add_f16_e32 v29, v19, v24
	s_mov_b32 s0, 0xbbad
	v_sub_f16_e32 v31, v9, v16
	v_fma_f16 v30, v29, s0, v8
	s_movk_i32 s1, 0x3abb
	v_mul_f16_e32 v32, 0x3853, v31
	v_add_f16_e32 v33, v20, v25
	v_add_f16_e32 v30, v18, v30
	v_fma_f16 v34, v33, s1, v32
	v_add_f16_e32 v30, v30, v34
	v_sub_f16_e32 v34, v10, v15
	s_mov_b32 s6, 0xb93d
	v_mul_f16_e32 v35, 0xba0c, v34
	v_add_f16_e32 v36, v21, v26
	v_fma_f16 v37, v36, s6, v35
	v_add_f16_e32 v30, v30, v37
	v_sub_f16_e32 v37, v11, v14
	s_movk_i32 s7, 0x36a6
	v_mul_f16_e32 v38, 0x3b47, v37
	v_add_f16_e32 v39, v22, v27
	v_fma_f16 v40, v39, s7, v38
	v_add_f16_e32 v30, v30, v40
	v_sub_f16_e32 v40, v12, v13
	s_mov_b32 s8, 0xb08e
	v_mul_f16_e32 v41, 0xbbeb, v40
	v_add_f16_e32 v42, v23, v28
	v_fma_f16 v43, v42, s8, v41
	v_add_f16_e32 v30, v30, v43
	v_add_f16_e32 v43, v6, v17
	s_movk_i32 s14, 0x3482
	v_mul_f16_e32 v44, 0xbbad, v43
	v_sub_f16_e32 v45, v19, v24
	v_add_f16_e32 v47, v9, v16
	v_fma_f16 v46, v45, s14, v44
	s_mov_b32 s9, 0xb853
	v_mul_f16_e32 v48, 0x3abb, v47
	v_sub_f16_e32 v49, v20, v25
	v_add_f16_e32 v46, v0, v46
	v_fma_f16 v50, v49, s9, v48
	v_add_f16_e32 v46, v46, v50
	v_add_f16_e32 v50, v10, v15
	s_movk_i32 s18, 0x3a0c
	v_mul_f16_e32 v51, 0xb93d, v50
	v_sub_f16_e32 v52, v21, v26
	v_fma_f16 v53, v52, s18, v51
	v_add_f16_e32 v46, v46, v53
	v_add_f16_e32 v53, v11, v14
	s_mov_b32 s15, 0xbb47
	v_mul_f16_e32 v54, 0x36a6, v53
	v_sub_f16_e32 v55, v22, v27
	v_fma_f16 v56, v55, s15, v54
	v_add_f16_e32 v46, v46, v56
	v_add_f16_e32 v56, v12, v13
	s_movk_i32 s16, 0x3beb
	v_mul_f16_e32 v57, 0xb08e, v56
	v_sub_f16_e32 v58, v23, v28
	v_fma_f16 v59, v58, s16, v57
	v_add_f16_e32 v46, v46, v59
	v_mul_f16_e32 v59, 0xba0c, v7
	v_fma_f16 v60, v29, s6, v59
	v_mul_f16_e32 v61, 0x3beb, v31
	v_add_f16_e32 v60, v18, v60
	v_fma_f16 v62, v33, s8, v61
	v_add_f16_e32 v60, v60, v62
	v_mul_f16_e32 v62, 0xb853, v34
	v_fma_f16 v63, v36, s1, v62
	v_add_f16_e32 v60, v60, v63
	v_mul_f16_e32 v63, 0xb482, v37
	v_fma_f16 v64, v39, s0, v63
	v_add_f16_e32 v60, v60, v64
	v_mul_f16_e32 v64, 0x3b47, v40
	v_fma_f16 v65, v42, s7, v64
	v_add_f16_e32 v60, v60, v65
	v_mul_f16_e32 v65, 0xb93d, v43
	s_mov_b32 s17, 0xbbeb
	v_fma_f16 v66, v45, s18, v65
	v_mul_f16_e32 v67, 0xb08e, v47
	v_add_f16_e32 v66, v0, v66
	v_fma_f16 v68, v49, s17, v67
	v_add_f16_e32 v66, v66, v68
	s_movk_i32 s19, 0x3853
	v_mul_f16_e32 v68, 0x3abb, v50
	v_fma_f16 v69, v52, s19, v68
	v_add_f16_e32 v66, v66, v69
	v_mul_f16_e32 v69, 0xbbad, v53
	v_fma_f16 v70, v55, s14, v69
	v_add_f16_e32 v66, v66, v70
	;; [unrolled: 3-line block ×3, first 2 shown]
	v_mul_f16_e32 v71, 0xbbeb, v7
	v_fma_f16 v72, v29, s8, v71
	v_mul_f16_e32 v73, 0x3482, v31
	v_add_f16_e32 v72, v18, v72
	v_fma_f16 v74, v33, s0, v73
	v_add_f16_e32 v72, v72, v74
	v_mul_f16_e32 v74, 0x3b47, v34
	v_fma_f16 v75, v36, s7, v74
	v_add_f16_e32 v72, v72, v75
	v_mul_f16_e32 v75, 0xb853, v37
	;; [unrolled: 3-line block ×4, first 2 shown]
	s_mov_b32 s20, 0xb482
	v_fma_f16 v78, v45, s16, v77
	v_mul_f16_e32 v79, 0xbbad, v47
	v_add_f16_e32 v78, v0, v78
	v_fma_f16 v80, v49, s20, v79
	v_add_f16_e32 v78, v78, v80
	v_mul_f16_e32 v80, 0x36a6, v50
	v_fma_f16 v81, v52, s15, v80
	v_add_f16_e32 v78, v78, v81
	v_mul_f16_e32 v81, 0x3abb, v53
	v_fma_f16 v82, v55, s19, v81
	v_add_f16_e32 v78, v78, v82
	v_mul_f16_e32 v82, 0xb93d, v56
	v_fma_f16 v83, v58, s18, v82
	v_add_f16_e32 v78, v78, v83
	v_mul_f16_e32 v83, 0xbb47, v7
	v_fma_f16 v84, v29, s7, v83
	v_mul_f16_e32 v85, 0xba0c, v31
	v_add_f16_e32 v84, v18, v84
	v_fma_f16 v86, v33, s6, v85
	v_add_f16_e32 v84, v84, v86
	v_mul_f16_e32 v86, 0x3482, v34
	v_fma_f16 v87, v36, s0, v86
	v_add_f16_e32 v84, v84, v87
	v_mul_f16_e32 v87, 0x3beb, v37
	;; [unrolled: 3-line block ×3, first 2 shown]
	v_fma_f16 v89, v42, s1, v88
	v_add_f16_e32 v84, v84, v89
	s_movk_i32 s21, 0x3b47
	v_mul_f16_e32 v89, 0x36a6, v43
	v_fma_f16 v90, v45, s21, v89
	v_mul_f16_e32 v91, 0xb93d, v47
	v_add_f16_e32 v90, v0, v90
	v_fma_f16 v92, v49, s18, v91
	v_add_f16_e32 v90, v90, v92
	v_mul_f16_e32 v92, 0xbbad, v50
	v_fma_f16 v93, v52, s20, v92
	v_add_f16_e32 v90, v90, v93
	v_mul_f16_e32 v93, 0xb08e, v53
	;; [unrolled: 3-line block ×3, first 2 shown]
	v_fma_f16 v95, v58, s9, v94
	v_mul_f16_e32 v7, 0xb853, v7
	v_add_f16_e32 v90, v90, v95
	v_fma_f16 v95, v29, s1, v7
	v_mul_f16_e32 v31, 0xbb47, v31
	v_add_f16_e32 v95, v18, v95
	;; [unrolled: 3-line block ×3, first 2 shown]
	v_fma_f16 v96, v36, s8, v34
	v_mul_f16_e32 v37, 0xba0c, v37
	v_fma_f16 v8, v29, s0, -v8
	v_add_f16_e32 v95, v95, v96
	v_fma_f16 v96, v39, s6, v37
	v_mul_f16_e32 v40, 0xb482, v40
	v_add_f16_e32 v8, v18, v8
	v_fma_f16 v32, v33, s1, -v32
	v_add_f16_e32 v95, v95, v96
	v_fma_f16 v96, v42, s0, v40
	v_mul_f16_e32 v43, 0x3abb, v43
	v_add_f16_e32 v8, v8, v32
	;; [unrolled: 5-line block ×5, first 2 shown]
	v_fma_f16 v32, v45, s20, v44
	v_add_f16_e32 v96, v96, v97
	v_fma_f16 v97, v55, s18, v53
	v_add_f16_e32 v32, v0, v32
	v_fma_f16 v35, v49, s19, v48
	s_mov_b32 s18, 0xba0c
	v_add_f16_e32 v32, v32, v35
	v_fma_f16 v35, v52, s18, v51
	v_add_f16_e32 v32, v32, v35
	v_fma_f16 v35, v55, s21, v54
	;; [unrolled: 2-line block ×3, first 2 shown]
	v_add_f16_e32 v32, v32, v35
	v_fma_f16 v35, v29, s6, -v59
	v_add_f16_e32 v35, v18, v35
	v_fma_f16 v38, v33, s8, -v61
	;; [unrolled: 2-line block ×5, first 2 shown]
	v_add_f16_e32 v35, v35, v38
	v_fma_f16 v38, v45, s18, v65
	v_add_f16_e32 v38, v0, v38
	v_fma_f16 v41, v49, s16, v67
	;; [unrolled: 2-line block ×5, first 2 shown]
	v_add_f16_e32 v38, v38, v41
	v_fma_f16 v41, v29, s8, -v71
	v_add_f16_e32 v41, v18, v41
	v_fma_f16 v44, v33, s0, -v73
	;; [unrolled: 2-line block ×5, first 2 shown]
	v_add_f16_e32 v41, v41, v44
	v_fma_f16 v44, v45, s17, v77
	v_add_f16_e32 v44, v0, v44
	v_fma_f16 v48, v49, s14, v79
	;; [unrolled: 2-line block ×5, first 2 shown]
	v_add_f16_e32 v44, v44, v48
	v_fma_f16 v48, v29, s7, -v83
	v_fma_f16 v7, v29, s1, -v7
	v_add_f16_e32 v48, v18, v48
	v_fma_f16 v51, v33, s6, -v85
	v_fma_f16 v29, v33, s7, -v31
	v_add_f16_e32 v7, v18, v7
	v_add_f16_e32 v48, v48, v51
	v_fma_f16 v51, v36, s0, -v86
	v_add_f16_e32 v7, v7, v29
	v_fma_f16 v29, v36, s8, -v34
	v_add_f16_e32 v48, v48, v51
	v_fma_f16 v51, v39, s8, -v87
	v_add_f16_e32 v7, v7, v29
	v_fma_f16 v29, v39, s6, -v37
	v_add_f16_e32 v48, v48, v51
	v_fma_f16 v51, v42, s1, -v88
	v_add_f16_e32 v7, v7, v29
	v_fma_f16 v29, v42, s0, -v40
	v_add_f16_e32 v48, v48, v51
	v_fma_f16 v51, v45, s15, v89
	v_add_f16_e32 v7, v7, v29
	v_fma_f16 v29, v45, s9, v43
	v_add_f16_e32 v51, v0, v51
	v_add_f16_e32 v29, v0, v29
	;; [unrolled: 1-line block ×18, first 2 shown]
	v_mul_f16_e32 v56, 0xbbad, v56
	v_add_f16_e32 v18, v25, v18
	v_add_f16_e32 v0, v16, v0
	;; [unrolled: 1-line block ×3, first 2 shown]
	v_fma_f16 v97, v58, s14, v56
	v_add_f16_sdwa v18, v24, v18 dst_sel:WORD_1 dst_unused:UNUSED_PAD src0_sel:DWORD src1_sel:DWORD
	v_add_f16_e32 v0, v17, v0
	v_add_f16_e32 v96, v96, v97
	v_fma_f16 v54, v49, s18, v91
	v_fma_f16 v31, v49, s15, v47
	v_or_b32_e32 v0, v18, v0
	v_mad_u32_u24 v6, v5, 44, 0
	v_add_f16_e32 v51, v51, v54
	v_fma_f16 v54, v52, s14, v92
	v_add_f16_e32 v29, v29, v31
	v_fma_f16 v31, v52, s17, v50
	ds_write_b32 v6, v0
	v_pack_b32_f16 v0, v90, v84
	v_pack_b32_f16 v9, v96, v95
	v_add_f16_e32 v51, v51, v54
	v_fma_f16 v54, v55, s16, v93
	v_add_f16_e32 v29, v29, v31
	v_fma_f16 v31, v55, s18, v53
	ds_write2_b32 v6, v9, v0 offset0:1 offset1:2
	v_pack_b32_f16 v0, v66, v60
	v_pack_b32_f16 v9, v78, v72
	v_add_f16_e32 v51, v51, v54
	v_fma_f16 v54, v58, s19, v94
	v_add_f16_e32 v29, v29, v31
	v_fma_f16 v31, v58, s20, v56
	ds_write2_b32 v6, v9, v0 offset0:3 offset1:4
	v_pack_b32_f16 v0, v32, v8
	v_pack_b32_f16 v8, v46, v30
	v_add_f16_e32 v51, v51, v54
	v_add_f16_e32 v29, v29, v31
	ds_write2_b32 v6, v8, v0 offset0:5 offset1:6
	v_pack_b32_f16 v0, v44, v41
	v_pack_b32_f16 v8, v38, v35
	ds_write2_b32 v6, v8, v0 offset0:7 offset1:8
	v_pack_b32_f16 v0, v29, v7
	v_pack_b32_f16 v7, v51, v48
	ds_write2_b32 v6, v7, v0 offset0:9 offset1:10
.LBB0_13:
	s_or_b64 exec, exec, s[2:3]
	s_movk_i32 s2, 0x75
	v_mul_lo_u16_sdwa v6, v5, s2 dst_sel:DWORD dst_unused:UNUSED_PAD src0_sel:BYTE_0 src1_sel:DWORD
	v_sub_u16_sdwa v7, v5, v6 dst_sel:DWORD dst_unused:UNUSED_PAD src0_sel:DWORD src1_sel:BYTE_1
	v_add_u32_e32 v0, 0x63, v5
	v_lshrrev_b16_e32 v7, 1, v7
	v_and_b32_e32 v7, 0x7f, v7
	v_mul_lo_u16_sdwa v8, v0, s2 dst_sel:DWORD dst_unused:UNUSED_PAD src0_sel:BYTE_0 src1_sel:DWORD
	v_add_u16_sdwa v6, v7, v6 dst_sel:DWORD dst_unused:UNUSED_PAD src0_sel:DWORD src1_sel:BYTE_1
	v_sub_u16_sdwa v9, v0, v8 dst_sel:DWORD dst_unused:UNUSED_PAD src0_sel:DWORD src1_sel:BYTE_1
	v_lshrrev_b16_e32 v19, 3, v6
	v_lshrrev_b16_e32 v9, 1, v9
	v_mul_lo_u16_e32 v6, 11, v19
	v_and_b32_e32 v9, 0x7f, v9
	v_sub_u16_e32 v20, v5, v6
	v_mov_b32_e32 v6, 3
	v_add_u16_sdwa v8, v9, v8 dst_sel:DWORD dst_unused:UNUSED_PAD src0_sel:DWORD src1_sel:BYTE_1
	v_lshlrev_b32_sdwa v7, v6, v20 dst_sel:DWORD dst_unused:UNUSED_PAD src0_sel:DWORD src1_sel:BYTE_0
	v_lshrrev_b16_e32 v21, 3, v8
	s_load_dwordx2 s[0:1], s[4:5], 0x0
	s_waitcnt lgkmcnt(0)
	s_barrier
	global_load_dwordx2 v[9:10], v7, s[12:13]
	v_mul_lo_u16_e32 v7, 11, v21
	v_sub_u16_e32 v22, v0, v7
	v_lshlrev_b32_sdwa v6, v6, v22 dst_sel:DWORD dst_unused:UNUSED_PAD src0_sel:DWORD src1_sel:BYTE_0
	global_load_dwordx2 v[11:12], v6, s[12:13]
	v_lshl_add_u32 v6, v5, 2, 0
	v_add_u32_e32 v7, 0x200, v6
	ds_read2_b32 v[13:14], v6 offset1:99
	v_add_u32_e32 v8, 0x400, v6
	ds_read2_b32 v[15:16], v7 offset0:70 offset1:169
	ds_read2_b32 v[17:18], v8 offset0:140 offset1:239
	ds_read_u16 v24, v6 offset:2
	v_mov_b32_e32 v23, 2
	v_mul_u32_u24_e32 v19, 0x84, v19
	s_waitcnt lgkmcnt(2)
	v_lshrrev_b32_e32 v26, 16, v15
	s_waitcnt lgkmcnt(1)
	v_lshrrev_b32_e32 v27, 16, v17
	v_lshlrev_b32_sdwa v20, v23, v20 dst_sel:DWORD dst_unused:UNUSED_PAD src0_sel:DWORD src1_sel:BYTE_0
	v_lshrrev_b32_e32 v28, 16, v16
	v_lshrrev_b32_e32 v29, 16, v18
	v_add3_u32 v19, 0, v19, v20
	v_lshrrev_b32_e32 v25, 16, v14
	s_movk_i32 s2, 0x3aee
	s_mov_b32 s3, 0xbaee
	s_waitcnt vmcnt(0) lgkmcnt(0)
	s_barrier
	s_movk_i32 s4, 0xf9
	v_mul_f16_sdwa v20, v9, v26 dst_sel:DWORD dst_unused:UNUSED_PAD src0_sel:WORD_1 src1_sel:DWORD
	v_mul_f16_sdwa v30, v9, v15 dst_sel:DWORD dst_unused:UNUSED_PAD src0_sel:WORD_1 src1_sel:DWORD
	v_mul_f16_sdwa v31, v10, v27 dst_sel:DWORD dst_unused:UNUSED_PAD src0_sel:WORD_1 src1_sel:DWORD
	v_mul_f16_sdwa v32, v10, v17 dst_sel:DWORD dst_unused:UNUSED_PAD src0_sel:WORD_1 src1_sel:DWORD
	v_mul_f16_sdwa v33, v11, v28 dst_sel:DWORD dst_unused:UNUSED_PAD src0_sel:WORD_1 src1_sel:DWORD
	v_mul_f16_sdwa v34, v11, v16 dst_sel:DWORD dst_unused:UNUSED_PAD src0_sel:WORD_1 src1_sel:DWORD
	v_mul_f16_sdwa v35, v12, v29 dst_sel:DWORD dst_unused:UNUSED_PAD src0_sel:WORD_1 src1_sel:DWORD
	v_mul_f16_sdwa v36, v12, v18 dst_sel:DWORD dst_unused:UNUSED_PAD src0_sel:WORD_1 src1_sel:DWORD
	v_fma_f16 v15, v9, v15, -v20
	v_fma_f16 v9, v9, v26, v30
	v_fma_f16 v17, v10, v17, -v31
	v_fma_f16 v10, v10, v27, v32
	;; [unrolled: 2-line block ×4, first 2 shown]
	v_add_f16_e32 v26, v15, v17
	v_sub_f16_e32 v27, v9, v10
	v_add_f16_e32 v28, v24, v9
	v_add_f16_e32 v9, v9, v10
	;; [unrolled: 1-line block ×3, first 2 shown]
	v_sub_f16_e32 v15, v15, v17
	v_sub_f16_e32 v31, v11, v12
	v_add_f16_e32 v32, v25, v11
	v_add_f16_e32 v11, v11, v12
	v_fma_f16 v13, v26, -0.5, v13
	v_fma_f16 v9, v9, -0.5, v24
	v_add_f16_e32 v29, v14, v16
	v_add_f16_e32 v30, v16, v18
	v_sub_f16_e32 v16, v16, v18
	v_add_f16_e32 v17, v20, v17
	v_add_f16_e32 v10, v28, v10
	v_fma_f16 v11, v11, -0.5, v25
	v_fma_f16 v20, v27, s2, v13
	v_fma_f16 v13, v27, s3, v13
	;; [unrolled: 1-line block ×4, first 2 shown]
	v_fma_f16 v14, v30, -0.5, v14
	v_fma_f16 v25, v16, s3, v11
	v_fma_f16 v11, v16, s2, v11
	v_pack_b32_f16 v10, v17, v10
	v_pack_b32_f16 v16, v20, v24
	;; [unrolled: 1-line block ×3, first 2 shown]
	v_add_f16_e32 v18, v29, v18
	v_add_f16_e32 v12, v32, v12
	v_fma_f16 v15, v31, s2, v14
	ds_write2_b32 v19, v10, v16 offset1:11
	ds_write_b32 v19, v9 offset:88
	v_mul_u32_u24_e32 v9, 0x84, v21
	v_lshlrev_b32_sdwa v10, v23, v22 dst_sel:DWORD dst_unused:UNUSED_PAD src0_sel:DWORD src1_sel:BYTE_0
	v_fma_f16 v14, v31, s3, v14
	v_add3_u32 v9, 0, v9, v10
	v_pack_b32_f16 v10, v18, v12
	v_pack_b32_f16 v12, v15, v25
	ds_write2_b32 v9, v10, v12 offset1:11
	v_pack_b32_f16 v10, v14, v11
	ds_write_b32 v9, v10 offset:88
	v_mul_lo_u16_sdwa v9, v5, s4 dst_sel:DWORD dst_unused:UNUSED_PAD src0_sel:BYTE_0 src1_sel:DWORD
	v_lshrrev_b16_e32 v19, 13, v9
	v_mul_lo_u16_e32 v9, 33, v19
	v_sub_u16_e32 v20, v5, v9
	v_mov_b32_e32 v9, 5
	v_mul_u32_u24_sdwa v9, v20, v9 dst_sel:DWORD dst_unused:UNUSED_PAD src0_sel:BYTE_0 src1_sel:DWORD
	v_lshlrev_b32_e32 v13, 2, v9
	s_waitcnt lgkmcnt(0)
	s_barrier
	global_load_dwordx4 v[9:12], v13, s[12:13] offset:88
	global_load_dword v21, v13, s[12:13] offset:104
	ds_read2_b32 v[13:14], v6 offset1:99
	ds_read2_b32 v[15:16], v7 offset0:70 offset1:169
	ds_read2_b32 v[17:18], v8 offset0:140 offset1:239
	s_waitcnt vmcnt(0) lgkmcnt(0)
	s_barrier
	v_lshrrev_b32_e32 v24, 16, v14
	v_lshrrev_b32_e32 v25, 16, v15
	;; [unrolled: 1-line block ×6, first 2 shown]
	v_mul_f16_sdwa v29, v9, v24 dst_sel:DWORD dst_unused:UNUSED_PAD src0_sel:WORD_1 src1_sel:DWORD
	v_mul_f16_sdwa v30, v9, v14 dst_sel:DWORD dst_unused:UNUSED_PAD src0_sel:WORD_1 src1_sel:DWORD
	;; [unrolled: 1-line block ×10, first 2 shown]
	v_fma_f16 v14, v9, v14, -v29
	v_fma_f16 v9, v9, v24, v30
	v_fma_f16 v15, v10, v15, -v31
	v_fma_f16 v10, v10, v25, v32
	;; [unrolled: 2-line block ×5, first 2 shown]
	v_sub_f16_e32 v26, v10, v12
	v_add_f16_e32 v27, v22, v10
	v_add_f16_e32 v10, v10, v12
	;; [unrolled: 1-line block ×3, first 2 shown]
	v_sub_f16_e32 v30, v11, v21
	v_add_f16_e32 v31, v9, v11
	v_add_f16_e32 v11, v11, v21
	;; [unrolled: 1-line block ×4, first 2 shown]
	v_sub_f16_e32 v15, v15, v17
	v_add_f16_e32 v28, v14, v16
	v_sub_f16_e32 v16, v16, v18
	v_fma_f16 v10, v10, -0.5, v22
	v_fma_f16 v14, v29, -0.5, v14
	;; [unrolled: 1-line block ×3, first 2 shown]
	v_add_f16_e32 v17, v24, v17
	v_fma_f16 v13, v25, -0.5, v13
	v_fma_f16 v22, v15, s3, v10
	v_fma_f16 v10, v15, s2, v10
	;; [unrolled: 1-line block ×5, first 2 shown]
	v_add_f16_e32 v12, v27, v12
	v_fma_f16 v11, v26, s2, v13
	v_fma_f16 v13, v26, s3, v13
	;; [unrolled: 1-line block ×3, first 2 shown]
	v_mul_f16_e32 v26, 0x3aee, v24
	v_mul_f16_e32 v27, -0.5, v14
	v_add_f16_e32 v18, v28, v18
	v_mul_f16_e32 v28, 0xbaee, v15
	v_fma_f16 v15, v15, 0.5, v26
	v_fma_f16 v26, v9, s2, v27
	v_mul_f16_e32 v9, -0.5, v9
	v_add_f16_e32 v21, v31, v21
	v_fma_f16 v24, v24, 0.5, v28
	v_fma_f16 v9, v14, s3, v9
	v_add_f16_e32 v16, v17, v18
	v_add_f16_e32 v25, v12, v21
	;; [unrolled: 1-line block ×6, first 2 shown]
	v_sub_f16_e32 v17, v17, v18
	v_sub_f16_e32 v11, v11, v15
	;; [unrolled: 1-line block ×6, first 2 shown]
	v_mul_u32_u24_e32 v10, 0x318, v19
	v_lshlrev_b32_sdwa v18, v23, v20 dst_sel:DWORD dst_unused:UNUSED_PAD src0_sel:DWORD src1_sel:BYTE_0
	v_add3_u32 v10, 0, v10, v18
	v_pack_b32_f16 v16, v16, v25
	v_pack_b32_f16 v18, v27, v28
	;; [unrolled: 1-line block ×6, first 2 shown]
	ds_write2_b32 v10, v16, v18 offset1:33
	ds_write2_b32 v10, v14, v12 offset0:66 offset1:99
	ds_write2_b32 v10, v11, v9 offset0:132 offset1:165
	s_waitcnt lgkmcnt(0)
	s_barrier
	s_and_saveexec_b64 s[4:5], vcc
	s_cbranch_execz .LBB0_15
; %bb.14:
	v_lshlrev_b32_e32 v9, 1, v0
	v_mov_b32_e32 v10, 0
	v_lshlrev_b64 v[11:12], 2, v[9:10]
	v_lshlrev_b32_e32 v9, 1, v5
	v_mov_b32_e32 v15, s13
	v_add_co_u32_e32 v11, vcc, s12, v11
	v_lshlrev_b64 v[13:14], 2, v[9:10]
	v_addc_co_u32_e32 v12, vcc, v15, v12, vcc
	v_add_co_u32_e32 v13, vcc, s12, v13
	global_load_dwordx2 v[11:12], v[11:12], off offset:748
	v_addc_co_u32_e32 v14, vcc, v15, v14, vcc
	global_load_dwordx2 v[13:14], v[13:14], off offset:748
	v_mul_lo_u32 v9, s1, v3
	v_mul_lo_u32 v19, s0, v4
	v_mad_u64_u32 v[3:4], s[0:1], s0, v3, 0
	v_mov_b32_e32 v20, s11
	v_lshlrev_b64 v[1:2], 2, v[1:2]
	v_add3_u32 v4, v4, v19, v9
	v_lshlrev_b64 v[3:4], 2, v[3:4]
	ds_read2_b32 v[15:16], v7 offset0:70 offset1:169
	ds_read2_b32 v[7:8], v8 offset0:140 offset1:239
	ds_read2_b32 v[17:18], v6 offset1:99
	v_add_co_u32_e32 v3, vcc, s10, v3
	v_mov_b32_e32 v6, v10
	v_addc_co_u32_e32 v4, vcc, v20, v4, vcc
	v_lshlrev_b64 v[5:6], 2, v[5:6]
	v_add_co_u32_e32 v1, vcc, v3, v1
	v_addc_co_u32_e32 v2, vcc, v4, v2, vcc
	v_add_co_u32_e32 v1, vcc, v1, v5
	v_addc_co_u32_e32 v2, vcc, v2, v6, vcc
	s_waitcnt lgkmcnt(0)
	v_lshrrev_b32_e32 v9, 16, v18
	s_mov_b32 s0, 0xa57eb503
	v_lshrrev_b32_e32 v19, 16, v17
	v_mul_hi_u32 v0, v0, s0
	v_lshrrev_b32_e32 v0, 7, v0
	s_waitcnt vmcnt(1)
	v_lshrrev_b32_e32 v3, 16, v11
	v_lshrrev_b32_e32 v4, 16, v12
	v_mul_f16_sdwa v5, v11, v16 dst_sel:DWORD dst_unused:UNUSED_PAD src0_sel:DWORD src1_sel:WORD_1
	v_mul_f16_sdwa v6, v12, v8 dst_sel:DWORD dst_unused:UNUSED_PAD src0_sel:DWORD src1_sel:WORD_1
	;; [unrolled: 1-line block ×4, first 2 shown]
	v_fma_f16 v3, v3, v16, v5
	v_fma_f16 v4, v4, v8, v6
	s_waitcnt vmcnt(0)
	v_lshrrev_b32_e32 v5, 16, v13
	v_lshrrev_b32_e32 v6, 16, v14
	v_mul_f16_sdwa v22, v13, v15 dst_sel:DWORD dst_unused:UNUSED_PAD src0_sel:DWORD src1_sel:WORD_1
	v_mul_f16_sdwa v23, v14, v7 dst_sel:DWORD dst_unused:UNUSED_PAD src0_sel:DWORD src1_sel:WORD_1
	v_fma_f16 v11, v11, v16, -v20
	v_fma_f16 v8, v12, v8, -v21
	v_add_f16_e32 v12, v3, v4
	v_sub_f16_e32 v16, v3, v4
	v_add_f16_e32 v3, v3, v9
	v_mul_f16_sdwa v20, v5, v15 dst_sel:DWORD dst_unused:UNUSED_PAD src0_sel:DWORD src1_sel:WORD_1
	v_mul_f16_sdwa v21, v6, v7 dst_sel:DWORD dst_unused:UNUSED_PAD src0_sel:DWORD src1_sel:WORD_1
	v_fma_f16 v5, v5, v15, v22
	v_fma_f16 v6, v6, v7, v23
	v_sub_f16_e32 v22, v11, v8
	v_fma_f16 v9, v12, -0.5, v9
	v_add_f16_e32 v12, v11, v8
	v_add_f16_e32 v23, v3, v4
	;; [unrolled: 1-line block ×3, first 2 shown]
	v_fma_f16 v4, v13, v15, -v20
	v_fma_f16 v7, v14, v7, -v21
	v_add_f16_e32 v11, v5, v6
	v_fma_f16 v14, v22, s2, v9
	v_fma_f16 v15, v22, s3, v9
	v_fma_f16 v9, v11, -0.5, v19
	v_add_f16_e32 v11, v4, v7
	v_sub_f16_e32 v13, v5, v6
	v_add_f16_e32 v5, v5, v19
	v_fma_f16 v12, v12, -0.5, v18
	v_add_f16_e32 v8, v3, v8
	v_sub_f16_e32 v3, v4, v7
	v_fma_f16 v11, v11, -0.5, v17
	v_add_f16_e32 v5, v6, v5
	v_add_f16_e32 v4, v4, v17
	v_fma_f16 v6, v16, s3, v12
	v_fma_f16 v12, v16, s2, v12
	;; [unrolled: 1-line block ×5, first 2 shown]
	v_add_f16_e32 v4, v4, v7
	v_fma_f16 v7, v13, s3, v11
	v_pack_b32_f16 v3, v9, v3
	v_pack_b32_f16 v4, v4, v5
	global_store_dword v[1:2], v3, off offset:792
	v_pack_b32_f16 v3, v7, v16
	v_mul_u32_u24_e32 v9, 0x18c, v0
	global_store_dword v[1:2], v4, off
	global_store_dword v[1:2], v3, off offset:1584
	v_lshlrev_b64 v[3:4], 2, v[9:10]
	v_add_co_u32_e32 v0, vcc, v1, v3
	v_addc_co_u32_e32 v1, vcc, v2, v4, vcc
	v_pack_b32_f16 v2, v8, v23
	global_store_dword v[0:1], v2, off offset:396
	v_pack_b32_f16 v2, v12, v15
	global_store_dword v[0:1], v2, off offset:1188
	;; [unrolled: 2-line block ×3, first 2 shown]
.LBB0_15:
	s_endpgm
	.section	.rodata,"a",@progbits
	.p2align	6, 0x0
	.amdhsa_kernel fft_rtc_fwd_len594_factors_11_3_6_3_wgs_99_tpt_99_half_op_CI_CI_unitstride_sbrr_dirReg
		.amdhsa_group_segment_fixed_size 0
		.amdhsa_private_segment_fixed_size 0
		.amdhsa_kernarg_size 104
		.amdhsa_user_sgpr_count 6
		.amdhsa_user_sgpr_private_segment_buffer 1
		.amdhsa_user_sgpr_dispatch_ptr 0
		.amdhsa_user_sgpr_queue_ptr 0
		.amdhsa_user_sgpr_kernarg_segment_ptr 1
		.amdhsa_user_sgpr_dispatch_id 0
		.amdhsa_user_sgpr_flat_scratch_init 0
		.amdhsa_user_sgpr_private_segment_size 0
		.amdhsa_uses_dynamic_stack 0
		.amdhsa_system_sgpr_private_segment_wavefront_offset 0
		.amdhsa_system_sgpr_workgroup_id_x 1
		.amdhsa_system_sgpr_workgroup_id_y 0
		.amdhsa_system_sgpr_workgroup_id_z 0
		.amdhsa_system_sgpr_workgroup_info 0
		.amdhsa_system_vgpr_workitem_id 0
		.amdhsa_next_free_vgpr 98
		.amdhsa_next_free_sgpr 28
		.amdhsa_reserve_vcc 1
		.amdhsa_reserve_flat_scratch 0
		.amdhsa_float_round_mode_32 0
		.amdhsa_float_round_mode_16_64 0
		.amdhsa_float_denorm_mode_32 3
		.amdhsa_float_denorm_mode_16_64 3
		.amdhsa_dx10_clamp 1
		.amdhsa_ieee_mode 1
		.amdhsa_fp16_overflow 0
		.amdhsa_exception_fp_ieee_invalid_op 0
		.amdhsa_exception_fp_denorm_src 0
		.amdhsa_exception_fp_ieee_div_zero 0
		.amdhsa_exception_fp_ieee_overflow 0
		.amdhsa_exception_fp_ieee_underflow 0
		.amdhsa_exception_fp_ieee_inexact 0
		.amdhsa_exception_int_div_zero 0
	.end_amdhsa_kernel
	.text
.Lfunc_end0:
	.size	fft_rtc_fwd_len594_factors_11_3_6_3_wgs_99_tpt_99_half_op_CI_CI_unitstride_sbrr_dirReg, .Lfunc_end0-fft_rtc_fwd_len594_factors_11_3_6_3_wgs_99_tpt_99_half_op_CI_CI_unitstride_sbrr_dirReg
                                        ; -- End function
	.section	.AMDGPU.csdata,"",@progbits
; Kernel info:
; codeLenInByte = 5472
; NumSgprs: 32
; NumVgprs: 98
; ScratchSize: 0
; MemoryBound: 0
; FloatMode: 240
; IeeeMode: 1
; LDSByteSize: 0 bytes/workgroup (compile time only)
; SGPRBlocks: 3
; VGPRBlocks: 24
; NumSGPRsForWavesPerEU: 32
; NumVGPRsForWavesPerEU: 98
; Occupancy: 2
; WaveLimiterHint : 1
; COMPUTE_PGM_RSRC2:SCRATCH_EN: 0
; COMPUTE_PGM_RSRC2:USER_SGPR: 6
; COMPUTE_PGM_RSRC2:TRAP_HANDLER: 0
; COMPUTE_PGM_RSRC2:TGID_X_EN: 1
; COMPUTE_PGM_RSRC2:TGID_Y_EN: 0
; COMPUTE_PGM_RSRC2:TGID_Z_EN: 0
; COMPUTE_PGM_RSRC2:TIDIG_COMP_CNT: 0
	.type	__hip_cuid_494437095ca505f0,@object ; @__hip_cuid_494437095ca505f0
	.section	.bss,"aw",@nobits
	.globl	__hip_cuid_494437095ca505f0
__hip_cuid_494437095ca505f0:
	.byte	0                               ; 0x0
	.size	__hip_cuid_494437095ca505f0, 1

	.ident	"AMD clang version 19.0.0git (https://github.com/RadeonOpenCompute/llvm-project roc-6.4.0 25133 c7fe45cf4b819c5991fe208aaa96edf142730f1d)"
	.section	".note.GNU-stack","",@progbits
	.addrsig
	.addrsig_sym __hip_cuid_494437095ca505f0
	.amdgpu_metadata
---
amdhsa.kernels:
  - .args:
      - .actual_access:  read_only
        .address_space:  global
        .offset:         0
        .size:           8
        .value_kind:     global_buffer
      - .offset:         8
        .size:           8
        .value_kind:     by_value
      - .actual_access:  read_only
        .address_space:  global
        .offset:         16
        .size:           8
        .value_kind:     global_buffer
      - .actual_access:  read_only
        .address_space:  global
        .offset:         24
        .size:           8
        .value_kind:     global_buffer
      - .actual_access:  read_only
        .address_space:  global
        .offset:         32
        .size:           8
        .value_kind:     global_buffer
      - .offset:         40
        .size:           8
        .value_kind:     by_value
      - .actual_access:  read_only
        .address_space:  global
        .offset:         48
        .size:           8
        .value_kind:     global_buffer
      - .actual_access:  read_only
        .address_space:  global
        .offset:         56
        .size:           8
        .value_kind:     global_buffer
      - .offset:         64
        .size:           4
        .value_kind:     by_value
      - .actual_access:  read_only
        .address_space:  global
        .offset:         72
        .size:           8
        .value_kind:     global_buffer
      - .actual_access:  read_only
        .address_space:  global
        .offset:         80
        .size:           8
        .value_kind:     global_buffer
      - .actual_access:  read_only
        .address_space:  global
        .offset:         88
        .size:           8
        .value_kind:     global_buffer
      - .actual_access:  write_only
        .address_space:  global
        .offset:         96
        .size:           8
        .value_kind:     global_buffer
    .group_segment_fixed_size: 0
    .kernarg_segment_align: 8
    .kernarg_segment_size: 104
    .language:       OpenCL C
    .language_version:
      - 2
      - 0
    .max_flat_workgroup_size: 99
    .name:           fft_rtc_fwd_len594_factors_11_3_6_3_wgs_99_tpt_99_half_op_CI_CI_unitstride_sbrr_dirReg
    .private_segment_fixed_size: 0
    .sgpr_count:     32
    .sgpr_spill_count: 0
    .symbol:         fft_rtc_fwd_len594_factors_11_3_6_3_wgs_99_tpt_99_half_op_CI_CI_unitstride_sbrr_dirReg.kd
    .uniform_work_group_size: 1
    .uses_dynamic_stack: false
    .vgpr_count:     98
    .vgpr_spill_count: 0
    .wavefront_size: 64
amdhsa.target:   amdgcn-amd-amdhsa--gfx906
amdhsa.version:
  - 1
  - 2
...

	.end_amdgpu_metadata
